;; amdgpu-corpus repo=ROCm/rocFFT kind=compiled arch=gfx1201 opt=O3
	.text
	.amdgcn_target "amdgcn-amd-amdhsa--gfx1201"
	.amdhsa_code_object_version 6
	.protected	bluestein_single_fwd_len96_dim1_dp_op_CI_CI ; -- Begin function bluestein_single_fwd_len96_dim1_dp_op_CI_CI
	.globl	bluestein_single_fwd_len96_dim1_dp_op_CI_CI
	.p2align	8
	.type	bluestein_single_fwd_len96_dim1_dp_op_CI_CI,@function
bluestein_single_fwd_len96_dim1_dp_op_CI_CI: ; @bluestein_single_fwd_len96_dim1_dp_op_CI_CI
; %bb.0:
	s_load_b128 s[16:19], s[0:1], 0x28
	v_lshrrev_b32_e32 v24, 4, v0
	v_mov_b32_e32 v149, 0
	s_mov_b32 s2, exec_lo
	s_delay_alu instid0(VALU_DEP_2) | instskip(SKIP_1) | instid1(VALU_DEP_1)
	v_lshl_or_b32 v148, ttmp9, 3, v24
	s_wait_kmcnt 0x0
	v_cmpx_gt_u64_e64 s[16:17], v[148:149]
	s_cbranch_execz .LBB0_10
; %bb.1:
	s_clause 0x1
	s_load_b128 s[4:7], s[0:1], 0x18
	s_load_b128 s[8:11], s[0:1], 0x0
	v_and_b32_e32 v151, 15, v0
	v_mul_u32_u24_e32 v156, 0x60, v24
	s_load_b64 s[0:1], s[0:1], 0x38
                                        ; implicit-def: $vgpr108_vgpr109
                                        ; implicit-def: $vgpr116_vgpr117
                                        ; implicit-def: $vgpr144_vgpr145
                                        ; implicit-def: $vgpr140_vgpr141
                                        ; implicit-def: $vgpr132_vgpr133
                                        ; implicit-def: $vgpr136_vgpr137
                                        ; implicit-def: $vgpr124_vgpr125
                                        ; implicit-def: $vgpr128_vgpr129
                                        ; implicit-def: $vgpr120_vgpr121
                                        ; implicit-def: $vgpr112_vgpr113
	s_delay_alu instid0(VALU_DEP_2) | instskip(NEXT) | instid1(VALU_DEP_2)
	v_lshlrev_b32_e32 v154, 4, v151
	v_or_b32_e32 v24, v156, v151
	s_delay_alu instid0(VALU_DEP_2) | instskip(NEXT) | instid1(VALU_DEP_2)
	v_lshl_or_b32 v152, v156, 4, v154
	v_lshlrev_b32_e32 v153, 4, v24
	s_wait_kmcnt 0x0
	s_load_b128 s[12:15], s[4:5], 0x0
	s_wait_kmcnt 0x0
	v_mad_co_u64_u32 v[0:1], null, s14, v148, 0
	v_mad_co_u64_u32 v[2:3], null, s12, v151, 0
	s_lshl_b64 s[2:3], s[12:13], 8
	s_delay_alu instid0(VALU_DEP_1) | instskip(NEXT) | instid1(VALU_DEP_1)
	v_mad_co_u64_u32 v[4:5], null, s15, v148, v[1:2]
	v_mad_co_u64_u32 v[5:6], null, s13, v151, v[3:4]
	v_mov_b32_e32 v1, v4
	s_mov_b32 s13, 0xbfebb67a
	s_delay_alu instid0(VALU_DEP_1) | instskip(NEXT) | instid1(VALU_DEP_3)
	v_lshlrev_b64_e32 v[0:1], 4, v[0:1]
	v_mov_b32_e32 v3, v5
	s_delay_alu instid0(VALU_DEP_2) | instskip(NEXT) | instid1(VALU_DEP_2)
	v_add_co_u32 v0, vcc_lo, s18, v0
	v_lshlrev_b64_e32 v[2:3], 4, v[2:3]
	s_delay_alu instid0(VALU_DEP_4) | instskip(NEXT) | instid1(VALU_DEP_2)
	v_add_co_ci_u32_e32 v1, vcc_lo, s19, v1, vcc_lo
	v_add_co_u32 v16, vcc_lo, v0, v2
	s_wait_alu 0xfffd
	s_delay_alu instid0(VALU_DEP_2)
	v_add_co_ci_u32_e32 v17, vcc_lo, v1, v3, vcc_lo
	s_clause 0x1
	global_load_b128 v[0:3], v154, s[8:9]
	global_load_b128 v[4:7], v154, s[8:9] offset:256
	v_add_co_u32 v18, vcc_lo, v16, s2
	s_wait_alu 0xfffd
	v_add_co_ci_u32_e32 v19, vcc_lo, s3, v17, vcc_lo
	s_clause 0x1
	global_load_b128 v[8:11], v154, s[8:9] offset:512
	global_load_b128 v[12:15], v154, s[8:9] offset:768
	v_add_co_u32 v20, vcc_lo, v18, s2
	s_wait_alu 0xfffd
	v_add_co_ci_u32_e32 v21, vcc_lo, s3, v19, vcc_lo
	global_load_b128 v[25:28], v[16:17], off
	v_add_co_u32 v22, vcc_lo, v20, s2
	s_wait_alu 0xfffd
	v_add_co_ci_u32_e32 v23, vcc_lo, s3, v21, vcc_lo
	s_clause 0x1
	global_load_b128 v[29:32], v[18:19], off
	global_load_b128 v[33:36], v[20:21], off
	v_add_co_u32 v16, vcc_lo, v22, s2
	s_wait_alu 0xfffd
	v_add_co_ci_u32_e32 v17, vcc_lo, s3, v23, vcc_lo
	s_delay_alu instid0(VALU_DEP_2) | instskip(SKIP_1) | instid1(VALU_DEP_2)
	v_add_co_u32 v45, vcc_lo, v16, s2
	s_wait_alu 0xfffd
	v_add_co_ci_u32_e32 v46, vcc_lo, s3, v17, vcc_lo
	s_clause 0x1
	global_load_b128 v[37:40], v[22:23], off
	global_load_b128 v[41:44], v[16:17], off
	s_clause 0x1
	global_load_b128 v[16:19], v154, s[8:9] offset:1024
	global_load_b128 v[20:23], v154, s[8:9] offset:1280
	global_load_b128 v[45:48], v[45:46], off
	s_load_b128 s[4:7], s[6:7], 0x0
	s_mov_b32 s2, 0xe8584caa
	s_mov_b32 s3, 0x3febb67a
	s_wait_alu 0xfffe
	s_mov_b32 s12, s2
	v_cmp_gt_u32_e32 vcc_lo, 6, v151
	s_wait_loadcnt 0x7
	v_mul_f64_e32 v[49:50], v[27:28], v[2:3]
	v_mul_f64_e32 v[51:52], v[25:26], v[2:3]
	s_wait_loadcnt 0x6
	v_mul_f64_e32 v[53:54], v[31:32], v[6:7]
	v_mul_f64_e32 v[55:56], v[29:30], v[6:7]
	;; [unrolled: 3-line block ×6, first 2 shown]
	v_fma_f64 v[25:26], v[25:26], v[0:1], v[49:50]
	v_fma_f64 v[27:28], v[27:28], v[0:1], -v[51:52]
	v_fma_f64 v[29:30], v[29:30], v[4:5], v[53:54]
	v_fma_f64 v[31:32], v[31:32], v[4:5], -v[55:56]
	;; [unrolled: 2-line block ×6, first 2 shown]
	ds_store_b128 v153, v[25:28]
	ds_store_b128 v153, v[29:32] offset:256
	ds_store_b128 v152, v[33:36] offset:512
	;; [unrolled: 1-line block ×5, first 2 shown]
	global_wb scope:SCOPE_SE
	s_wait_dscnt 0x0
	s_wait_kmcnt 0x0
	s_barrier_signal -1
	s_barrier_wait -1
	global_inv scope:SCOPE_SE
	ds_load_b128 v[24:27], v152 offset:768
	ds_load_b128 v[28:31], v152 offset:1280
	;; [unrolled: 1-line block ×3, first 2 shown]
	s_wait_dscnt 0x1
	v_add_f64_e32 v[36:37], v[26:27], v[30:31]
	v_add_f64_e32 v[38:39], v[24:25], v[28:29]
	v_add_f64_e64 v[44:45], v[26:27], -v[30:31]
	v_add_f64_e64 v[46:47], v[24:25], -v[28:29]
	s_wait_dscnt 0x0
	v_add_f64_e32 v[24:25], v[32:33], v[24:25]
	v_add_f64_e32 v[26:27], v[34:35], v[26:27]
	v_fma_f64 v[48:49], v[36:37], -0.5, v[34:35]
	v_fma_f64 v[50:51], v[38:39], -0.5, v[32:33]
	ds_load_b128 v[36:39], v152 offset:512
	ds_load_b128 v[40:43], v152 offset:1024
	v_add_f64_e32 v[24:25], v[24:25], v[28:29]
	v_add_f64_e32 v[26:27], v[26:27], v[30:31]
	s_wait_dscnt 0x0
	v_add_f64_e32 v[52:53], v[36:37], v[40:41]
	v_add_f64_e32 v[54:55], v[38:39], v[42:43]
	v_add_f64_e64 v[62:63], v[38:39], -v[42:43]
	v_add_f64_e64 v[34:35], v[36:37], -v[40:41]
	s_wait_alu 0xfffe
	v_fma_f64 v[56:57], v[46:47], s[12:13], v[48:49]
	v_fma_f64 v[58:59], v[44:45], s[12:13], v[50:51]
	;; [unrolled: 1-line block ×4, first 2 shown]
	ds_load_b128 v[44:47], v153
	global_wb scope:SCOPE_SE
	s_wait_dscnt 0x0
	s_barrier_signal -1
	s_barrier_wait -1
	global_inv scope:SCOPE_SE
	v_add_f64_e32 v[60:61], v[44:45], v[36:37]
	v_add_f64_e32 v[38:39], v[46:47], v[38:39]
	v_fma_f64 v[32:33], v[52:53], -0.5, v[44:45]
	v_fma_f64 v[36:37], v[54:55], -0.5, v[46:47]
	v_mul_f64_e32 v[44:45], s[2:3], v[56:57]
	v_mul_f64_e32 v[46:47], -0.5, v[58:59]
	v_mul_f64_e32 v[52:53], s[12:13], v[50:51]
	v_mul_f64_e32 v[54:55], -0.5, v[48:49]
	v_add_f64_e32 v[40:41], v[60:61], v[40:41]
	v_add_f64_e32 v[38:39], v[38:39], v[42:43]
	v_fma_f64 v[28:29], v[62:63], s[2:3], v[32:33]
	v_fma_f64 v[30:31], v[62:63], s[12:13], v[32:33]
	;; [unrolled: 1-line block ×4, first 2 shown]
	v_fma_f64 v[36:37], v[50:51], 0.5, v[44:45]
	v_fma_f64 v[42:43], v[48:49], s[2:3], v[46:47]
	v_fma_f64 v[44:45], v[56:57], 0.5, v[52:53]
	v_fma_f64 v[46:47], v[58:59], s[12:13], v[54:55]
	v_add_co_u32 v149, s2, s8, v154
	s_wait_alu 0xf1ff
	v_add_co_ci_u32_e64 v150, null, s9, 0, s2
	v_add_f64_e32 v[84:85], v[40:41], v[24:25]
	v_add_f64_e32 v[86:87], v[38:39], v[26:27]
	v_add_f64_e64 v[92:93], v[40:41], -v[24:25]
	v_add_f64_e64 v[94:95], v[38:39], -v[26:27]
	v_mul_u32_u24_e32 v24, 6, v151
	s_delay_alu instid0(VALU_DEP_1)
	v_add_lshl_u32 v155, v156, v24, 4
	v_add_f64_e32 v[88:89], v[28:29], v[36:37]
	v_add_f64_e32 v[96:97], v[30:31], v[42:43]
	;; [unrolled: 1-line block ×4, first 2 shown]
	v_add_f64_e64 v[100:101], v[28:29], -v[36:37]
	v_add_f64_e64 v[104:105], v[30:31], -v[42:43]
	;; [unrolled: 1-line block ×4, first 2 shown]
	ds_store_b128 v155, v[84:87]
	ds_store_b128 v155, v[88:91] offset:16
	ds_store_b128 v155, v[96:99] offset:32
	;; [unrolled: 1-line block ×5, first 2 shown]
	global_wb scope:SCOPE_SE
	s_wait_dscnt 0x0
	s_barrier_signal -1
	s_barrier_wait -1
	global_inv scope:SCOPE_SE
	s_and_saveexec_b32 s2, vcc_lo
	s_cbranch_execz .LBB0_3
; %bb.2:
	ds_load_b128 v[84:87], v153
	ds_load_b128 v[88:91], v153 offset:96
	ds_load_b128 v[96:99], v153 offset:192
	;; [unrolled: 1-line block ×15, first 2 shown]
.LBB0_3:
	s_wait_alu 0xfffe
	s_or_b32 exec_lo, exec_lo, s2
	v_mul_lo_u16 v24, v151, 43
	s_mov_b32 s2, 0x667f3bcd
	s_mov_b32 s3, 0xbfe6a09e
	;; [unrolled: 1-line block ×4, first 2 shown]
	v_lshrrev_b16 v24, 8, v24
	s_mov_b32 s15, 0x3fed906b
	s_wait_alu 0xfffe
	s_mov_b32 s14, s12
	s_mov_b32 s16, 0xa6aea964
	;; [unrolled: 1-line block ×3, first 2 shown]
	v_mul_lo_u16 v24, v24, 6
	s_mov_b32 s19, 0x3fd87de2
	s_wait_alu 0xfffe
	s_mov_b32 s18, s16
	s_delay_alu instid0(VALU_DEP_1) | instskip(NEXT) | instid1(VALU_DEP_1)
	v_sub_nc_u16 v24, v151, v24
	v_mul_lo_u16 v24, v24, 15
	s_delay_alu instid0(VALU_DEP_1) | instskip(NEXT) | instid1(VALU_DEP_1)
	v_and_b32_e32 v24, 0xff, v24
	v_lshlrev_b32_e32 v76, 4, v24
	s_clause 0xe
	global_load_b128 v[24:27], v76, s[10:11]
	global_load_b128 v[36:39], v76, s[10:11] offset:16
	global_load_b128 v[32:35], v76, s[10:11] offset:32
	;; [unrolled: 1-line block ×14, first 2 shown]
	s_mov_b32 s11, 0x3fe6a09e
	s_mov_b32 s10, s2
	s_wait_loadcnt_dscnt 0xe0e
	v_mul_f64_e32 v[157:158], v[90:91], v[26:27]
	v_mul_f64_e32 v[159:160], v[88:89], v[26:27]
	s_wait_loadcnt_dscnt 0xd0d
	v_mul_f64_e32 v[161:162], v[98:99], v[38:39]
	v_mul_f64_e32 v[163:164], v[96:97], v[38:39]
	;; [unrolled: 3-line block ×9, first 2 shown]
	s_wait_loadcnt 0x5
	v_mul_f64_e32 v[193:194], v[130:131], v[62:63]
	v_mul_f64_e32 v[195:196], v[128:129], v[62:63]
	s_wait_loadcnt_dscnt 0x401
	v_mul_f64_e32 v[197:198], v[142:143], v[82:83]
	v_mul_f64_e32 v[199:200], v[140:141], v[82:83]
	s_wait_loadcnt 0x3
	v_mul_f64_e32 v[201:202], v[132:133], v[66:67]
	s_wait_loadcnt 0x2
	;; [unrolled: 2-line block ×3, first 2 shown]
	v_mul_f64_e32 v[205:206], v[114:115], v[74:75]
	s_wait_loadcnt_dscnt 0x0
	v_mul_f64_e32 v[207:208], v[146:147], v[78:79]
	v_mul_f64_e32 v[209:210], v[112:113], v[74:75]
	v_mul_f64_e32 v[211:212], v[144:145], v[78:79]
	v_mul_f64_e32 v[213:214], v[134:135], v[66:67]
	v_mul_f64_e32 v[215:216], v[124:125], v[70:71]
	v_fma_f64 v[88:89], v[88:89], v[24:25], -v[157:158]
	v_fma_f64 v[90:91], v[90:91], v[24:25], v[159:160]
	v_fma_f64 v[96:97], v[96:97], v[36:37], -v[161:162]
	v_fma_f64 v[98:99], v[98:99], v[36:37], v[163:164]
	;; [unrolled: 2-line block ×11, first 2 shown]
	v_fma_f64 v[134:135], v[134:135], v[64:65], v[201:202]
	v_fma_f64 v[124:125], v[124:125], v[68:69], -v[203:204]
	v_fma_f64 v[112:113], v[112:113], v[72:73], -v[205:206]
	;; [unrolled: 1-line block ×3, first 2 shown]
	v_fma_f64 v[114:115], v[114:115], v[72:73], v[209:210]
	v_fma_f64 v[146:147], v[146:147], v[76:77], v[211:212]
	v_fma_f64 v[132:133], v[132:133], v[64:65], -v[213:214]
	v_fma_f64 v[126:127], v[126:127], v[68:69], v[215:216]
	v_add_f64_e64 v[120:121], v[84:85], -v[120:121]
	v_add_f64_e64 v[122:123], v[86:87], -v[122:123]
	;; [unrolled: 1-line block ×16, first 2 shown]
	v_fma_f64 v[84:85], v[84:85], 2.0, -v[120:121]
	v_fma_f64 v[86:87], v[86:87], 2.0, -v[122:123]
	;; [unrolled: 1-line block ×4, first 2 shown]
	v_add_f64_e32 v[159:160], v[122:123], v[136:137]
	v_add_f64_e64 v[157:158], v[120:121], -v[138:139]
	v_fma_f64 v[100:101], v[100:101], 2.0, -v[136:137]
	v_fma_f64 v[102:103], v[102:103], 2.0, -v[138:139]
	v_add_f64_e32 v[163:164], v[130:131], v[140:141]
	v_add_f64_e64 v[161:162], v[128:129], -v[142:143]
	v_add_f64_e64 v[165:166], v[116:117], -v[134:135]
	v_fma_f64 v[96:97], v[96:97], 2.0, -v[128:129]
	v_fma_f64 v[98:99], v[98:99], 2.0, -v[130:131]
	;; [unrolled: 1-line block ×4, first 2 shown]
	v_add_f64_e64 v[167:168], v[124:125], -v[146:147]
	v_add_f64_e32 v[169:170], v[118:119], v[132:133]
	v_add_f64_e32 v[171:172], v[126:127], v[144:145]
	v_fma_f64 v[92:93], v[92:93], 2.0, -v[124:125]
	v_fma_f64 v[112:113], v[112:113], 2.0, -v[144:145]
	;; [unrolled: 1-line block ×8, first 2 shown]
	v_add_f64_e64 v[100:101], v[84:85], -v[100:101]
	v_add_f64_e64 v[102:103], v[86:87], -v[102:103]
	v_fma_f64 v[130:131], v[130:131], 2.0, -v[163:164]
	v_fma_f64 v[128:129], v[128:129], 2.0, -v[161:162]
	;; [unrolled: 1-line block ×3, first 2 shown]
	v_fma_f64 v[132:133], v[163:164], s[10:11], v[159:160]
	v_add_f64_e64 v[108:109], v[96:97], -v[108:109]
	v_add_f64_e64 v[110:111], v[98:99], -v[110:111]
	v_fma_f64 v[134:135], v[124:125], 2.0, -v[167:168]
	v_fma_f64 v[118:119], v[118:119], 2.0, -v[169:170]
	;; [unrolled: 1-line block ×3, first 2 shown]
	v_fma_f64 v[124:125], v[161:162], s[10:11], v[157:158]
	v_add_f64_e64 v[112:113], v[92:93], -v[112:113]
	v_add_f64_e64 v[104:105], v[88:89], -v[104:105]
	v_fma_f64 v[136:137], v[167:168], s[10:11], v[165:166]
	v_add_f64_e64 v[114:115], v[94:95], -v[114:115]
	v_add_f64_e64 v[106:107], v[90:91], -v[106:107]
	v_fma_f64 v[138:139], v[171:172], s[10:11], v[169:170]
	v_fma_f64 v[84:85], v[84:85], 2.0, -v[100:101]
	v_fma_f64 v[86:87], v[86:87], 2.0, -v[102:103]
	v_fma_f64 v[142:143], v[130:131], s[2:3], v[122:123]
	v_fma_f64 v[140:141], v[128:129], s[2:3], v[120:121]
	;; [unrolled: 1-line block ×3, first 2 shown]
	v_fma_f64 v[96:97], v[96:97], 2.0, -v[108:109]
	v_fma_f64 v[98:99], v[98:99], 2.0, -v[110:111]
	v_fma_f64 v[144:145], v[134:135], s[2:3], v[116:117]
	v_add_f64_e64 v[173:174], v[100:101], -v[110:111]
	v_fma_f64 v[146:147], v[126:127], s[2:3], v[118:119]
	v_add_f64_e32 v[175:176], v[102:103], v[108:109]
	v_fma_f64 v[92:93], v[92:93], 2.0, -v[112:113]
	v_fma_f64 v[163:164], v[163:164], s[2:3], v[124:125]
	v_fma_f64 v[88:89], v[88:89], 2.0, -v[104:105]
	v_add_f64_e64 v[108:109], v[104:105], -v[114:115]
	v_add_f64_e32 v[110:111], v[106:107], v[112:113]
	v_fma_f64 v[90:91], v[90:91], 2.0, -v[106:107]
	v_fma_f64 v[94:95], v[94:95], 2.0, -v[114:115]
	v_fma_f64 v[112:113], v[171:172], s[2:3], v[136:137]
	v_fma_f64 v[114:115], v[167:168], s[10:11], v[138:139]
	;; [unrolled: 1-line block ×4, first 2 shown]
	v_fma_f64 v[140:141], v[159:160], 2.0, -v[161:162]
	v_add_f64_e64 v[128:129], v[84:85], -v[96:97]
	v_fma_f64 v[167:168], v[126:127], s[2:3], v[144:145]
	v_fma_f64 v[126:127], v[100:101], 2.0, -v[173:174]
	v_fma_f64 v[171:172], v[134:135], s[10:11], v[146:147]
	v_fma_f64 v[134:135], v[102:103], 2.0, -v[175:176]
	v_add_f64_e64 v[146:147], v[86:87], -v[98:99]
	v_fma_f64 v[130:131], v[157:158], 2.0, -v[163:164]
	v_add_f64_e64 v[92:93], v[88:89], -v[92:93]
	v_fma_f64 v[104:105], v[104:105], 2.0, -v[108:109]
	v_fma_f64 v[106:107], v[106:107], 2.0, -v[110:111]
	v_fma_f64 v[96:97], v[108:109], s[10:11], v[173:174]
	v_add_f64_e64 v[94:95], v[90:91], -v[94:95]
	v_fma_f64 v[157:158], v[165:166], 2.0, -v[112:113]
	v_fma_f64 v[159:160], v[169:170], 2.0, -v[114:115]
	v_fma_f64 v[98:99], v[110:111], s[10:11], v[175:176]
	v_fma_f64 v[100:101], v[112:113], s[14:15], v[163:164]
	v_fma_f64 v[102:103], v[114:115], s[14:15], v[161:162]
	v_fma_f64 v[142:143], v[122:123], 2.0, -v[132:133]
	v_fma_f64 v[136:137], v[120:121], 2.0, -v[124:125]
	;; [unrolled: 1-line block ×4, first 2 shown]
	s_wait_alu 0xfffe
	v_fma_f64 v[181:182], v[167:168], s[18:19], v[124:125]
	v_fma_f64 v[169:170], v[118:119], 2.0, -v[171:172]
	v_fma_f64 v[183:184], v[171:172], s[18:19], v[132:133]
	v_fma_f64 v[144:145], v[86:87], 2.0, -v[146:147]
	v_fma_f64 v[84:85], v[88:89], 2.0, -v[92:93]
	v_fma_f64 v[177:178], v[104:105], s[2:3], v[126:127]
	v_fma_f64 v[179:180], v[106:107], s[2:3], v[134:135]
	;; [unrolled: 1-line block ×3, first 2 shown]
	v_fma_f64 v[86:87], v[90:91], 2.0, -v[94:95]
	v_fma_f64 v[88:89], v[157:158], s[16:17], v[130:131]
	v_fma_f64 v[90:91], v[159:160], s[16:17], v[140:141]
	v_fma_f64 v[118:119], v[108:109], s[10:11], v[98:99]
	v_fma_f64 v[120:121], v[114:115], s[16:17], v[100:101]
	v_fma_f64 v[122:123], v[112:113], s[18:19], v[102:103]
	v_add_f64_e64 v[100:101], v[128:129], -v[94:95]
	v_add_f64_e32 v[102:103], v[146:147], v[92:93]
	v_fma_f64 v[185:186], v[165:166], s[12:13], v[136:137]
	v_fma_f64 v[108:109], v[171:172], s[12:13], v[181:182]
	;; [unrolled: 1-line block ×4, first 2 shown]
	v_add_f64_e64 v[112:113], v[138:139], -v[84:85]
	v_fma_f64 v[96:97], v[106:107], s[2:3], v[177:178]
	v_fma_f64 v[98:99], v[104:105], s[10:11], v[179:180]
	v_fma_f64 v[84:85], v[173:174], 2.0, -v[116:117]
	v_add_f64_e64 v[114:115], v[144:145], -v[86:87]
	v_fma_f64 v[104:105], v[159:160], s[12:13], v[88:89]
	v_fma_f64 v[106:107], v[157:158], s[14:15], v[90:91]
	v_fma_f64 v[86:87], v[175:176], 2.0, -v[118:119]
	v_fma_f64 v[88:89], v[163:164], 2.0, -v[120:121]
	;; [unrolled: 1-line block ×3, first 2 shown]
	v_fma_f64 v[92:93], v[169:170], s[16:17], v[185:186]
	v_fma_f64 v[94:95], v[165:166], s[18:19], v[187:188]
	s_and_saveexec_b32 s2, vcc_lo
	s_cbranch_execz .LBB0_5
; %bb.4:
	v_fma_f64 v[167:168], v[144:145], 2.0, -v[114:115]
	v_fma_f64 v[165:166], v[138:139], 2.0, -v[112:113]
	s_delay_alu instid0(VALU_DEP_3)
	v_fma_f64 v[163:164], v[142:143], 2.0, -v[94:95]
	v_fma_f64 v[161:162], v[136:137], 2.0, -v[92:93]
	;; [unrolled: 1-line block ×10, first 2 shown]
	ds_store_b128 v153, v[165:168]
	ds_store_b128 v153, v[161:164] offset:96
	ds_store_b128 v153, v[157:160] offset:192
	;; [unrolled: 1-line block ×15, first 2 shown]
.LBB0_5:
	s_wait_alu 0xfffe
	s_or_b32 exec_lo, exec_lo, s2
	s_add_nc_u64 s[2:3], s[8:9], 0x600
	global_wb scope:SCOPE_SE
	s_wait_dscnt 0x0
	s_barrier_signal -1
	s_barrier_wait -1
	global_inv scope:SCOPE_SE
	s_clause 0x5
	global_load_b128 v[124:127], v[149:150], off offset:1536
	global_load_b128 v[128:131], v154, s[2:3] offset:256
	global_load_b128 v[132:135], v154, s[2:3] offset:512
	;; [unrolled: 1-line block ×5, first 2 shown]
	ds_load_b128 v[157:160], v153
	ds_load_b128 v[161:164], v153 offset:256
	s_mov_b32 s2, 0xe8584caa
	s_mov_b32 s3, 0xbfebb67a
	;; [unrolled: 1-line block ×3, first 2 shown]
	s_wait_alu 0xfffe
	s_mov_b32 s8, s2
	s_wait_loadcnt_dscnt 0x501
	v_mul_f64_e32 v[149:150], v[159:160], v[126:127]
	v_mul_f64_e32 v[126:127], v[157:158], v[126:127]
	s_wait_loadcnt_dscnt 0x400
	v_mul_f64_e32 v[165:166], v[163:164], v[130:131]
	v_mul_f64_e32 v[130:131], v[161:162], v[130:131]
	s_delay_alu instid0(VALU_DEP_4) | instskip(NEXT) | instid1(VALU_DEP_4)
	v_fma_f64 v[157:158], v[157:158], v[124:125], -v[149:150]
	v_fma_f64 v[159:160], v[159:160], v[124:125], v[126:127]
	s_delay_alu instid0(VALU_DEP_4) | instskip(NEXT) | instid1(VALU_DEP_4)
	v_fma_f64 v[124:125], v[161:162], v[128:129], -v[165:166]
	v_fma_f64 v[126:127], v[163:164], v[128:129], v[130:131]
	v_lshl_add_u32 v149, v156, 4, v154
	ds_store_b128 v153, v[157:160]
	ds_store_b128 v153, v[124:127] offset:256
	ds_load_b128 v[124:127], v152 offset:512
	ds_load_b128 v[128:131], v149 offset:768
	ds_load_b128 v[156:159], v152 offset:1024
	ds_load_b128 v[160:163], v152 offset:1280
	s_wait_loadcnt_dscnt 0x303
	v_mul_f64_e32 v[164:165], v[126:127], v[134:135]
	v_mul_f64_e32 v[134:135], v[124:125], v[134:135]
	s_wait_loadcnt_dscnt 0x101
	v_mul_f64_e32 v[168:169], v[158:159], v[142:143]
	v_mul_f64_e32 v[142:143], v[156:157], v[142:143]
	;; [unrolled: 1-line block ×4, first 2 shown]
	s_wait_loadcnt_dscnt 0x0
	v_mul_f64_e32 v[170:171], v[162:163], v[146:147]
	v_mul_f64_e32 v[146:147], v[160:161], v[146:147]
	v_fma_f64 v[124:125], v[124:125], v[132:133], -v[164:165]
	v_fma_f64 v[126:127], v[126:127], v[132:133], v[134:135]
	v_fma_f64 v[132:133], v[156:157], v[140:141], -v[168:169]
	v_fma_f64 v[134:135], v[158:159], v[140:141], v[142:143]
	;; [unrolled: 2-line block ×4, first 2 shown]
	ds_store_b128 v152, v[124:127] offset:512
	ds_store_b128 v152, v[132:135] offset:1024
	;; [unrolled: 1-line block ×4, first 2 shown]
	global_wb scope:SCOPE_SE
	s_wait_dscnt 0x0
	s_barrier_signal -1
	s_barrier_wait -1
	global_inv scope:SCOPE_SE
	ds_load_b128 v[124:127], v149 offset:768
	ds_load_b128 v[128:131], v152 offset:1280
	;; [unrolled: 1-line block ×3, first 2 shown]
	s_wait_dscnt 0x1
	v_add_f64_e32 v[136:137], v[126:127], v[130:131]
	v_add_f64_e32 v[144:145], v[124:125], v[128:129]
	v_add_f64_e64 v[146:147], v[124:125], -v[128:129]
	v_add_f64_e64 v[162:163], v[126:127], -v[130:131]
	s_wait_dscnt 0x0
	v_add_f64_e32 v[124:125], v[132:133], v[124:125]
	v_add_f64_e32 v[126:127], v[134:135], v[126:127]
	v_fma_f64 v[156:157], v[136:137], -0.5, v[134:135]
	ds_load_b128 v[136:139], v152 offset:512
	ds_load_b128 v[140:143], v152 offset:1024
	v_fma_f64 v[164:165], v[144:145], -0.5, v[132:133]
	v_add_f64_e32 v[128:129], v[124:125], v[128:129]
	v_add_f64_e32 v[130:131], v[126:127], v[130:131]
	s_wait_dscnt 0x0
	v_add_f64_e32 v[158:159], v[136:137], v[140:141]
	v_add_f64_e32 v[160:161], v[138:139], v[142:143]
	v_add_f64_e64 v[170:171], v[138:139], -v[142:143]
	s_wait_alu 0xfffe
	v_fma_f64 v[166:167], v[146:147], s[8:9], v[156:157]
	v_fma_f64 v[156:157], v[146:147], s[2:3], v[156:157]
	ds_load_b128 v[144:147], v153
	global_wb scope:SCOPE_SE
	s_wait_dscnt 0x0
	s_barrier_signal -1
	s_barrier_wait -1
	global_inv scope:SCOPE_SE
	v_add_f64_e32 v[168:169], v[144:145], v[136:137]
	v_add_f64_e32 v[138:139], v[146:147], v[138:139]
	v_add_f64_e64 v[136:137], v[136:137], -v[140:141]
	v_fma_f64 v[132:133], v[158:159], -0.5, v[144:145]
	v_fma_f64 v[134:135], v[160:161], -0.5, v[146:147]
	v_fma_f64 v[144:145], v[162:163], s[2:3], v[164:165]
	v_fma_f64 v[146:147], v[162:163], s[8:9], v[164:165]
	v_mul_f64_e32 v[158:159], s[2:3], v[166:167]
	v_mul_f64_e32 v[160:161], s[2:3], v[156:157]
	v_mul_f64_e32 v[162:163], 0.5, v[166:167]
	v_mul_f64_e32 v[156:157], -0.5, v[156:157]
	v_add_f64_e32 v[140:141], v[168:169], v[140:141]
	v_add_f64_e32 v[138:139], v[138:139], v[142:143]
	v_fma_f64 v[142:143], v[170:171], s[2:3], v[132:133]
	v_fma_f64 v[164:165], v[170:171], s[8:9], v[132:133]
	;; [unrolled: 1-line block ×4, first 2 shown]
	v_fma_f64 v[158:159], v[144:145], 0.5, v[158:159]
	v_fma_f64 v[160:161], v[146:147], -0.5, v[160:161]
	v_fma_f64 v[162:163], v[144:145], s[8:9], v[162:163]
	v_fma_f64 v[146:147], v[146:147], s[8:9], v[156:157]
	v_add_f64_e32 v[124:125], v[140:141], v[128:129]
	v_add_f64_e32 v[126:127], v[138:139], v[130:131]
	v_add_f64_e64 v[132:133], v[140:141], -v[128:129]
	v_add_f64_e64 v[134:135], v[138:139], -v[130:131]
	v_add_f64_e32 v[128:129], v[142:143], v[158:159]
	v_add_f64_e32 v[136:137], v[164:165], v[160:161]
	;; [unrolled: 1-line block ×4, first 2 shown]
	v_add_f64_e64 v[140:141], v[142:143], -v[158:159]
	v_add_f64_e64 v[144:145], v[164:165], -v[160:161]
	;; [unrolled: 1-line block ×4, first 2 shown]
	ds_store_b128 v155, v[124:127]
	ds_store_b128 v155, v[128:131] offset:16
	ds_store_b128 v155, v[136:139] offset:32
	;; [unrolled: 1-line block ×5, first 2 shown]
	global_wb scope:SCOPE_SE
	s_wait_dscnt 0x0
	s_barrier_signal -1
	s_barrier_wait -1
	global_inv scope:SCOPE_SE
	s_and_saveexec_b32 s2, vcc_lo
	s_cbranch_execz .LBB0_7
; %bb.6:
	ds_load_b128 v[124:127], v153
	ds_load_b128 v[128:131], v153 offset:96
	ds_load_b128 v[136:139], v153 offset:192
	;; [unrolled: 1-line block ×15, first 2 shown]
.LBB0_7:
	s_wait_alu 0xfffe
	s_or_b32 exec_lo, exec_lo, s2
	s_and_saveexec_b32 s10, vcc_lo
	s_cbranch_execz .LBB0_9
; %bb.8:
	s_wait_dscnt 0xd
	v_mul_f64_e32 v[154:155], v[38:39], v[136:137]
	s_wait_dscnt 0x6
	v_mul_f64_e32 v[156:157], v[62:63], v[96:97]
	v_mul_f64_e32 v[158:159], v[50:51], v[86:87]
	s_wait_dscnt 0x2
	v_mul_f64_e32 v[160:161], v[82:83], v[118:119]
	s_wait_dscnt 0x1
	v_mul_f64_e32 v[162:163], v[42:43], v[112:113]
	v_mul_f64_e32 v[164:165], v[30:31], v[142:143]
	;; [unrolled: 1-line block ×10, first 2 shown]
	s_wait_dscnt 0x0
	v_mul_f64_e32 v[174:175], v[78:79], v[122:123]
	v_mul_f64_e32 v[176:177], v[26:27], v[128:129]
	v_mul_f64_e32 v[178:179], v[58:59], v[92:93]
	v_mul_f64_e32 v[180:181], v[46:47], v[146:147]
	v_mul_f64_e32 v[182:183], v[66:67], v[110:111]
	v_mul_f64_e32 v[74:75], v[74:75], v[88:89]
	v_mul_f64_e32 v[78:79], v[78:79], v[120:121]
	v_mul_f64_e32 v[34:35], v[34:35], v[134:135]
	v_mul_f64_e32 v[70:71], v[70:71], v[106:107]
	v_mul_f64_e32 v[46:47], v[46:47], v[144:145]
	v_mul_f64_e32 v[66:67], v[66:67], v[108:109]
	v_mul_f64_e32 v[26:27], v[26:27], v[130:131]
	v_mul_f64_e32 v[58:59], v[58:59], v[94:95]
	v_mul_f64_e32 v[30:31], v[30:31], v[140:141]
	v_mul_f64_e32 v[54:55], v[54:55], v[100:101]
	v_mul_f64_e32 v[42:43], v[42:43], v[114:115]
	s_mov_b32 s2, 0x667f3bcd
	s_mov_b32 s3, 0x3fe6a09e
	;; [unrolled: 1-line block ×3, first 2 shown]
	s_wait_alu 0xfffe
	s_mov_b32 s8, s2
	s_mov_b32 s12, 0xcf328d46
	;; [unrolled: 1-line block ×5, first 2 shown]
	v_fma_f64 v[138:139], v[36:37], v[138:139], -v[154:155]
	v_fma_f64 v[98:99], v[60:61], v[98:99], -v[156:157]
	v_fma_f64 v[84:85], v[48:49], v[84:85], v[158:159]
	v_fma_f64 v[116:117], v[80:81], v[116:117], v[160:161]
	v_fma_f64 v[114:115], v[40:41], v[114:115], -v[162:163]
	v_fma_f64 v[140:141], v[28:29], v[140:141], v[164:165]
	v_fma_f64 v[100:101], v[52:53], v[100:101], v[166:167]
	v_fma_f64 v[48:49], v[48:49], v[86:87], -v[50:51]
	v_fma_f64 v[50:51], v[80:81], v[118:119], -v[82:83]
	v_fma_f64 v[36:37], v[36:37], v[136:137], v[38:39]
	v_fma_f64 v[38:39], v[60:61], v[96:97], v[62:63]
	v_fma_f64 v[60:61], v[32:33], v[134:135], -v[168:169]
	v_fma_f64 v[62:63], v[68:69], v[106:107], -v[170:171]
	v_fma_f64 v[80:81], v[72:73], v[88:89], v[172:173]
	v_fma_f64 v[82:83], v[76:77], v[120:121], v[174:175]
	v_fma_f64 v[86:87], v[24:25], v[130:131], -v[176:177]
	v_fma_f64 v[88:89], v[56:57], v[94:95], -v[178:179]
	v_fma_f64 v[94:95], v[44:45], v[144:145], v[180:181]
	v_fma_f64 v[96:97], v[64:65], v[108:109], v[182:183]
	v_fma_f64 v[72:73], v[72:73], v[90:91], -v[74:75]
	v_fma_f64 v[74:75], v[76:77], v[122:123], -v[78:79]
	v_fma_f64 v[32:33], v[32:33], v[132:133], v[34:35]
	v_fma_f64 v[34:35], v[68:69], v[104:105], v[70:71]
	v_fma_f64 v[44:45], v[44:45], v[146:147], -v[46:47]
	v_fma_f64 v[46:47], v[64:65], v[110:111], -v[66:67]
	v_fma_f64 v[24:25], v[24:25], v[128:129], v[26:27]
	v_fma_f64 v[26:27], v[56:57], v[92:93], v[58:59]
	v_fma_f64 v[28:29], v[28:29], v[142:143], -v[30:31]
	v_fma_f64 v[30:31], v[52:53], v[102:103], -v[54:55]
	v_fma_f64 v[40:41], v[40:41], v[112:113], v[42:43]
	s_mov_b32 s17, 0x3fd87de2
	s_wait_alu 0xfffe
	s_mov_b32 s16, s14
	s_mov_b32 s19, 0xbfed906b
	s_mov_b32 s18, s12
	v_add_f64_e64 v[42:43], v[138:139], -v[98:99]
	v_add_f64_e64 v[52:53], v[84:85], -v[116:117]
	;; [unrolled: 1-line block ×17, first 2 shown]
	v_fma_f64 v[96:97], v[126:127], 2.0, -v[54:55]
	v_add_f64_e64 v[70:71], v[54:55], -v[56:57]
	v_fma_f64 v[56:57], v[140:141], 2.0, -v[56:57]
	v_fma_f64 v[48:49], v[48:49], 2.0, -v[50:51]
	v_add_f64_e32 v[76:77], v[50:51], v[38:39]
	v_add_f64_e64 v[82:83], v[58:59], -v[62:63]
	v_fma_f64 v[62:63], v[80:81], 2.0, -v[62:63]
	v_add_f64_e64 v[78:79], v[64:65], -v[66:67]
	v_fma_f64 v[50:51], v[94:95], 2.0, -v[66:67]
	v_fma_f64 v[66:67], v[86:87], 2.0, -v[64:65]
	v_add_f64_e32 v[88:89], v[68:69], v[34:35]
	v_fma_f64 v[32:33], v[32:33], 2.0, -v[34:35]
	v_fma_f64 v[44:45], v[44:45], 2.0, -v[46:47]
	v_add_f64_e32 v[90:91], v[46:47], v[26:27]
	;; [unrolled: 3-line block ×3, first 2 shown]
	v_fma_f64 v[30:31], v[36:37], 2.0, -v[38:39]
	v_fma_f64 v[36:37], v[84:85], 2.0, -v[52:53]
	;; [unrolled: 1-line block ×8, first 2 shown]
	v_fma_f64 v[72:73], v[74:75], s[2:3], v[70:71]
	v_fma_f64 v[38:39], v[38:39], 2.0, -v[76:77]
	v_fma_f64 v[58:59], v[58:59], 2.0, -v[82:83]
	;; [unrolled: 1-line block ×3, first 2 shown]
	v_fma_f64 v[80:81], v[82:83], s[2:3], v[78:79]
	v_fma_f64 v[34:35], v[34:35], 2.0, -v[88:89]
	v_add_f64_e64 v[62:63], v[32:33], -v[62:63]
	v_add_f64_e64 v[44:45], v[66:67], -v[44:45]
	v_fma_f64 v[26:27], v[26:27], 2.0, -v[90:91]
	v_add_f64_e64 v[50:51], v[24:25], -v[50:51]
	v_add_f64_e64 v[28:29], v[96:97], -v[28:29]
	v_fma_f64 v[40:41], v[40:41], 2.0, -v[92:93]
	v_fma_f64 v[84:85], v[88:89], s[2:3], v[90:91]
	v_fma_f64 v[86:87], v[76:77], s[2:3], v[92:93]
	v_add_f64_e64 v[48:49], v[52:53], -v[48:49]
	v_add_f64_e64 v[36:37], v[30:31], -v[36:37]
	;; [unrolled: 1-line block ×4, first 2 shown]
	v_fma_f64 v[94:95], v[42:43], s[8:9], v[54:55]
	v_fma_f64 v[72:73], v[76:77], s[8:9], v[72:73]
	;; [unrolled: 1-line block ×4, first 2 shown]
	v_fma_f64 v[32:33], v[32:33], 2.0, -v[62:63]
	v_add_f64_e64 v[62:63], v[44:45], -v[62:63]
	v_fma_f64 v[100:101], v[34:35], s[8:9], v[26:27]
	v_fma_f64 v[24:25], v[24:25], 2.0, -v[50:51]
	v_fma_f64 v[80:81], v[96:97], 2.0, -v[28:29]
	v_fma_f64 v[102:103], v[38:39], s[8:9], v[40:41]
	v_fma_f64 v[82:83], v[82:83], s[2:3], v[84:85]
	;; [unrolled: 1-line block ×3, first 2 shown]
	v_fma_f64 v[52:53], v[52:53], 2.0, -v[48:49]
	v_add_f64_e64 v[74:75], v[28:29], -v[36:37]
	v_add_f64_e32 v[84:85], v[60:61], v[50:51]
	v_add_f64_e32 v[96:97], v[56:57], v[48:49]
	v_fma_f64 v[48:49], v[68:69], 2.0, -v[56:57]
	v_fma_f64 v[30:31], v[30:31], 2.0, -v[36:37]
	;; [unrolled: 1-line block ×4, first 2 shown]
	v_fma_f64 v[60:61], v[38:39], s[8:9], v[94:95]
	v_fma_f64 v[94:95], v[70:71], 2.0, -v[72:73]
	v_fma_f64 v[66:67], v[34:35], s[8:9], v[98:99]
	v_fma_f64 v[38:39], v[58:59], s[2:3], v[100:101]
	v_add_f64_e64 v[32:33], v[24:25], -v[32:33]
	v_fma_f64 v[68:69], v[42:43], s[2:3], v[102:103]
	v_fma_f64 v[42:43], v[90:91], 2.0, -v[82:83]
	v_fma_f64 v[114:115], v[82:83], s[12:13], v[88:89]
	v_add_f64_e64 v[86:87], v[80:81], -v[52:53]
	v_fma_f64 v[52:53], v[78:79], 2.0, -v[76:77]
	v_fma_f64 v[78:79], v[92:93], 2.0, -v[88:89]
	;; [unrolled: 1-line block ×6, first 2 shown]
	v_add_f64_e64 v[70:71], v[48:49], -v[30:31]
	v_add_f64_e64 v[46:47], v[36:37], -v[46:47]
	v_fma_f64 v[30:31], v[62:63], s[2:3], v[74:75]
	v_fma_f64 v[112:113], v[84:85], s[2:3], v[96:97]
	v_fma_f64 v[92:93], v[54:55], 2.0, -v[60:61]
	v_fma_f64 v[58:59], v[64:65], 2.0, -v[66:67]
	v_fma_f64 v[54:55], v[26:27], 2.0, -v[38:39]
	v_fma_f64 v[26:27], v[76:77], s[12:13], v[72:73]
	v_fma_f64 v[24:25], v[24:25], 2.0, -v[32:33]
	v_fma_f64 v[98:99], v[40:41], 2.0, -v[68:69]
	s_wait_alu 0xfffe
	v_fma_f64 v[40:41], v[66:67], s[16:17], v[60:61]
	v_fma_f64 v[110:111], v[38:39], s[16:17], v[68:69]
	v_fma_f64 v[80:81], v[80:81], 2.0, -v[86:87]
	v_fma_f64 v[50:51], v[52:53], s[14:15], v[94:95]
	v_fma_f64 v[64:65], v[42:43], s[14:15], v[78:79]
	v_add_f64_e64 v[34:35], v[86:87], -v[32:33]
	v_fma_f64 v[100:101], v[28:29], s[8:9], v[90:91]
	v_fma_f64 v[102:103], v[44:45], s[8:9], v[56:57]
	v_fma_f64 v[104:105], v[48:49], 2.0, -v[70:71]
	v_fma_f64 v[36:37], v[36:37], 2.0, -v[46:47]
	v_add_f64_e32 v[32:33], v[70:71], v[46:47]
	v_fma_f64 v[30:31], v[84:85], s[8:9], v[30:31]
	v_fma_f64 v[106:107], v[58:59], s[18:19], v[92:93]
	;; [unrolled: 1-line block ×9, first 2 shown]
	v_add_f64_e64 v[48:49], v[104:105], -v[24:25]
	v_add_f64_e64 v[50:51], v[80:81], -v[36:37]
	v_fma_f64 v[36:37], v[66:67], s[12:13], v[110:111]
	v_fma_f64 v[28:29], v[62:63], s[2:3], v[112:113]
	v_fma_f64 v[24:25], v[76:77], s[16:17], v[114:115]
	v_fma_f64 v[66:67], v[86:87], 2.0, -v[34:35]
	v_fma_f64 v[64:65], v[70:71], 2.0, -v[32:33]
	;; [unrolled: 1-line block ×3, first 2 shown]
	v_fma_f64 v[54:55], v[54:55], s[14:15], v[106:107]
	v_fma_f64 v[52:53], v[58:59], s[16:17], v[108:109]
	v_fma_f64 v[58:59], v[72:73], 2.0, -v[26:27]
	v_fma_f64 v[70:71], v[60:61], 2.0, -v[38:39]
	v_fma_f64 v[74:75], v[94:95], 2.0, -v[42:43]
	v_fma_f64 v[72:73], v[78:79], 2.0, -v[40:41]
	v_fma_f64 v[78:79], v[90:91], 2.0, -v[46:47]
	v_fma_f64 v[76:77], v[56:57], 2.0, -v[44:45]
	v_fma_f64 v[82:83], v[80:81], 2.0, -v[50:51]
	v_fma_f64 v[80:81], v[104:105], 2.0, -v[48:49]
	v_fma_f64 v[68:69], v[68:69], 2.0, -v[36:37]
	v_fma_f64 v[60:61], v[96:97], 2.0, -v[28:29]
	v_fma_f64 v[56:57], v[88:89], 2.0, -v[24:25]
	v_fma_f64 v[86:87], v[92:93], 2.0, -v[54:55]
	v_fma_f64 v[84:85], v[98:99], 2.0, -v[52:53]
	ds_store_b128 v153, v[64:67] offset:384
	ds_store_b128 v153, v[76:79] offset:192
	;; [unrolled: 1-line block ×3, first 2 shown]
	ds_store_b128 v153, v[80:83]
	ds_store_b128 v153, v[84:87] offset:96
	ds_store_b128 v152, v[68:71] offset:480
	;; [unrolled: 1-line block ×12, first 2 shown]
.LBB0_9:
	s_wait_alu 0xfffe
	s_or_b32 exec_lo, exec_lo, s10
	global_wb scope:SCOPE_SE
	s_wait_dscnt 0x0
	s_barrier_signal -1
	s_barrier_wait -1
	global_inv scope:SCOPE_SE
	ds_load_b128 v[24:27], v153
	ds_load_b128 v[28:31], v153 offset:256
	ds_load_b128 v[32:35], v152 offset:512
	;; [unrolled: 1-line block ×5, first 2 shown]
	v_mad_co_u64_u32 v[60:61], null, s6, v148, 0
	s_mov_b32 s2, 0x55555555
	s_mov_b32 s3, 0x3f855555
	s_wait_dscnt 0x5
	v_mul_f64_e32 v[48:49], v[2:3], v[26:27]
	v_mul_f64_e32 v[2:3], v[2:3], v[24:25]
	s_wait_dscnt 0x4
	v_mul_f64_e32 v[50:51], v[6:7], v[30:31]
	v_mul_f64_e32 v[6:7], v[6:7], v[28:29]
	;; [unrolled: 3-line block ×6, first 2 shown]
	v_fma_f64 v[24:25], v[0:1], v[24:25], v[48:49]
	v_fma_f64 v[2:3], v[0:1], v[26:27], -v[2:3]
	v_fma_f64 v[26:27], v[4:5], v[28:29], v[50:51]
	v_fma_f64 v[6:7], v[4:5], v[30:31], -v[6:7]
	;; [unrolled: 2-line block ×6, first 2 shown]
	v_mad_co_u64_u32 v[0:1], null, s4, v151, 0
	s_delay_alu instid0(VALU_DEP_1)
	v_mad_co_u64_u32 v[8:9], null, s5, v151, v[1:2]
	v_mov_b32_e32 v4, v61
	s_wait_alu 0xfffe
	v_mul_f64_e32 v[2:3], s[2:3], v[2:3]
	v_mul_f64_e32 v[6:7], s[2:3], v[6:7]
	;; [unrolled: 1-line block ×5, first 2 shown]
	v_mov_b32_e32 v1, v8
	v_mad_co_u64_u32 v[4:5], null, s7, v148, v[4:5]
	v_mul_f64_e32 v[8:9], s[2:3], v[28:29]
	v_mul_f64_e32 v[16:17], s[2:3], v[32:33]
	s_delay_alu instid0(VALU_DEP_4)
	v_lshlrev_b64_e32 v[38:39], 4, v[0:1]
	v_mul_f64_e32 v[0:1], s[2:3], v[24:25]
	v_mul_f64_e32 v[18:19], s[2:3], v[18:19]
	;; [unrolled: 1-line block ×3, first 2 shown]
	v_mov_b32_e32 v61, v4
	v_mul_f64_e32 v[4:5], s[2:3], v[26:27]
	v_mul_f64_e32 v[22:23], s[2:3], v[22:23]
	s_delay_alu instid0(VALU_DEP_3) | instskip(NEXT) | instid1(VALU_DEP_1)
	v_lshlrev_b64_e32 v[36:37], 4, v[60:61]
	v_add_co_u32 v24, vcc_lo, s0, v36
	s_wait_alu 0xfffd
	s_delay_alu instid0(VALU_DEP_2) | instskip(SKIP_1) | instid1(VALU_DEP_2)
	v_add_co_ci_u32_e32 v25, vcc_lo, s1, v37, vcc_lo
	s_lshl_b64 s[0:1], s[4:5], 8
	v_add_co_u32 v24, vcc_lo, v24, v38
	s_wait_alu 0xfffd
	s_delay_alu instid0(VALU_DEP_2) | instskip(SKIP_1) | instid1(VALU_DEP_2)
	v_add_co_ci_u32_e32 v25, vcc_lo, v25, v39, vcc_lo
	s_wait_alu 0xfffe
	v_add_co_u32 v26, vcc_lo, v24, s0
	s_wait_alu 0xfffd
	s_delay_alu instid0(VALU_DEP_2) | instskip(NEXT) | instid1(VALU_DEP_2)
	v_add_co_ci_u32_e32 v27, vcc_lo, s1, v25, vcc_lo
	v_add_co_u32 v28, vcc_lo, v26, s0
	s_wait_alu 0xfffd
	s_delay_alu instid0(VALU_DEP_2) | instskip(NEXT) | instid1(VALU_DEP_2)
	v_add_co_ci_u32_e32 v29, vcc_lo, s1, v27, vcc_lo
	;; [unrolled: 4-line block ×4, first 2 shown]
	v_add_co_u32 v34, vcc_lo, v32, s0
	s_wait_alu 0xfffd
	s_delay_alu instid0(VALU_DEP_2)
	v_add_co_ci_u32_e32 v35, vcc_lo, s1, v33, vcc_lo
	s_clause 0x4
	global_store_b128 v[24:25], v[0:3], off
	global_store_b128 v[26:27], v[4:7], off
	;; [unrolled: 1-line block ×6, first 2 shown]
.LBB0_10:
	s_nop 0
	s_sendmsg sendmsg(MSG_DEALLOC_VGPRS)
	s_endpgm
	.section	.rodata,"a",@progbits
	.p2align	6, 0x0
	.amdhsa_kernel bluestein_single_fwd_len96_dim1_dp_op_CI_CI
		.amdhsa_group_segment_fixed_size 12288
		.amdhsa_private_segment_fixed_size 0
		.amdhsa_kernarg_size 104
		.amdhsa_user_sgpr_count 2
		.amdhsa_user_sgpr_dispatch_ptr 0
		.amdhsa_user_sgpr_queue_ptr 0
		.amdhsa_user_sgpr_kernarg_segment_ptr 1
		.amdhsa_user_sgpr_dispatch_id 0
		.amdhsa_user_sgpr_private_segment_size 0
		.amdhsa_wavefront_size32 1
		.amdhsa_uses_dynamic_stack 0
		.amdhsa_enable_private_segment 0
		.amdhsa_system_sgpr_workgroup_id_x 1
		.amdhsa_system_sgpr_workgroup_id_y 0
		.amdhsa_system_sgpr_workgroup_id_z 0
		.amdhsa_system_sgpr_workgroup_info 0
		.amdhsa_system_vgpr_workitem_id 0
		.amdhsa_next_free_vgpr 217
		.amdhsa_next_free_sgpr 20
		.amdhsa_reserve_vcc 1
		.amdhsa_float_round_mode_32 0
		.amdhsa_float_round_mode_16_64 0
		.amdhsa_float_denorm_mode_32 3
		.amdhsa_float_denorm_mode_16_64 3
		.amdhsa_fp16_overflow 0
		.amdhsa_workgroup_processor_mode 1
		.amdhsa_memory_ordered 1
		.amdhsa_forward_progress 0
		.amdhsa_round_robin_scheduling 0
		.amdhsa_exception_fp_ieee_invalid_op 0
		.amdhsa_exception_fp_denorm_src 0
		.amdhsa_exception_fp_ieee_div_zero 0
		.amdhsa_exception_fp_ieee_overflow 0
		.amdhsa_exception_fp_ieee_underflow 0
		.amdhsa_exception_fp_ieee_inexact 0
		.amdhsa_exception_int_div_zero 0
	.end_amdhsa_kernel
	.text
.Lfunc_end0:
	.size	bluestein_single_fwd_len96_dim1_dp_op_CI_CI, .Lfunc_end0-bluestein_single_fwd_len96_dim1_dp_op_CI_CI
                                        ; -- End function
	.section	.AMDGPU.csdata,"",@progbits
; Kernel info:
; codeLenInByte = 6988
; NumSgprs: 22
; NumVgprs: 217
; ScratchSize: 0
; MemoryBound: 0
; FloatMode: 240
; IeeeMode: 1
; LDSByteSize: 12288 bytes/workgroup (compile time only)
; SGPRBlocks: 2
; VGPRBlocks: 27
; NumSGPRsForWavesPerEU: 22
; NumVGPRsForWavesPerEU: 217
; Occupancy: 6
; WaveLimiterHint : 1
; COMPUTE_PGM_RSRC2:SCRATCH_EN: 0
; COMPUTE_PGM_RSRC2:USER_SGPR: 2
; COMPUTE_PGM_RSRC2:TRAP_HANDLER: 0
; COMPUTE_PGM_RSRC2:TGID_X_EN: 1
; COMPUTE_PGM_RSRC2:TGID_Y_EN: 0
; COMPUTE_PGM_RSRC2:TGID_Z_EN: 0
; COMPUTE_PGM_RSRC2:TIDIG_COMP_CNT: 0
	.text
	.p2alignl 7, 3214868480
	.fill 96, 4, 3214868480
	.type	__hip_cuid_daf9069256cada02,@object ; @__hip_cuid_daf9069256cada02
	.section	.bss,"aw",@nobits
	.globl	__hip_cuid_daf9069256cada02
__hip_cuid_daf9069256cada02:
	.byte	0                               ; 0x0
	.size	__hip_cuid_daf9069256cada02, 1

	.ident	"AMD clang version 19.0.0git (https://github.com/RadeonOpenCompute/llvm-project roc-6.4.0 25133 c7fe45cf4b819c5991fe208aaa96edf142730f1d)"
	.section	".note.GNU-stack","",@progbits
	.addrsig
	.addrsig_sym __hip_cuid_daf9069256cada02
	.amdgpu_metadata
---
amdhsa.kernels:
  - .args:
      - .actual_access:  read_only
        .address_space:  global
        .offset:         0
        .size:           8
        .value_kind:     global_buffer
      - .actual_access:  read_only
        .address_space:  global
        .offset:         8
        .size:           8
        .value_kind:     global_buffer
      - .actual_access:  read_only
        .address_space:  global
        .offset:         16
        .size:           8
        .value_kind:     global_buffer
      - .actual_access:  read_only
        .address_space:  global
        .offset:         24
        .size:           8
        .value_kind:     global_buffer
      - .actual_access:  read_only
        .address_space:  global
        .offset:         32
        .size:           8
        .value_kind:     global_buffer
      - .offset:         40
        .size:           8
        .value_kind:     by_value
      - .address_space:  global
        .offset:         48
        .size:           8
        .value_kind:     global_buffer
      - .address_space:  global
        .offset:         56
        .size:           8
        .value_kind:     global_buffer
      - .address_space:  global
        .offset:         64
        .size:           8
        .value_kind:     global_buffer
      - .address_space:  global
        .offset:         72
        .size:           8
        .value_kind:     global_buffer
      - .offset:         80
        .size:           4
        .value_kind:     by_value
      - .address_space:  global
        .offset:         88
        .size:           8
        .value_kind:     global_buffer
      - .address_space:  global
        .offset:         96
        .size:           8
        .value_kind:     global_buffer
    .group_segment_fixed_size: 12288
    .kernarg_segment_align: 8
    .kernarg_segment_size: 104
    .language:       OpenCL C
    .language_version:
      - 2
      - 0
    .max_flat_workgroup_size: 128
    .name:           bluestein_single_fwd_len96_dim1_dp_op_CI_CI
    .private_segment_fixed_size: 0
    .sgpr_count:     22
    .sgpr_spill_count: 0
    .symbol:         bluestein_single_fwd_len96_dim1_dp_op_CI_CI.kd
    .uniform_work_group_size: 1
    .uses_dynamic_stack: false
    .vgpr_count:     217
    .vgpr_spill_count: 0
    .wavefront_size: 32
    .workgroup_processor_mode: 1
amdhsa.target:   amdgcn-amd-amdhsa--gfx1201
amdhsa.version:
  - 1
  - 2
...

	.end_amdgpu_metadata
